;; amdgpu-corpus repo=ROCm/rocFFT kind=compiled arch=gfx1201 opt=O3
	.text
	.amdgcn_target "amdgcn-amd-amdhsa--gfx1201"
	.amdhsa_code_object_version 6
	.protected	fft_rtc_back_len1664_factors_13_2_2_4_2_2_2_wgs_208_tpt_208_halfLds_sp_ip_CI_unitstride_sbrr_C2R_dirReg ; -- Begin function fft_rtc_back_len1664_factors_13_2_2_4_2_2_2_wgs_208_tpt_208_halfLds_sp_ip_CI_unitstride_sbrr_C2R_dirReg
	.globl	fft_rtc_back_len1664_factors_13_2_2_4_2_2_2_wgs_208_tpt_208_halfLds_sp_ip_CI_unitstride_sbrr_C2R_dirReg
	.p2align	8
	.type	fft_rtc_back_len1664_factors_13_2_2_4_2_2_2_wgs_208_tpt_208_halfLds_sp_ip_CI_unitstride_sbrr_C2R_dirReg,@function
fft_rtc_back_len1664_factors_13_2_2_4_2_2_2_wgs_208_tpt_208_halfLds_sp_ip_CI_unitstride_sbrr_C2R_dirReg: ; @fft_rtc_back_len1664_factors_13_2_2_4_2_2_2_wgs_208_tpt_208_halfLds_sp_ip_CI_unitstride_sbrr_C2R_dirReg
; %bb.0:
	s_clause 0x2
	s_load_b128 s[4:7], s[0:1], 0x0
	s_load_b64 s[8:9], s[0:1], 0x50
	s_load_b64 s[10:11], s[0:1], 0x18
	v_mul_u32_u24_e32 v1, 0x13c, v0
	v_mov_b32_e32 v3, 0
	s_delay_alu instid0(VALU_DEP_2) | instskip(NEXT) | instid1(VALU_DEP_1)
	v_lshrrev_b32_e32 v1, 16, v1
	v_add_nc_u32_e32 v5, ttmp9, v1
	v_mov_b32_e32 v1, 0
	v_mov_b32_e32 v2, 0
	;; [unrolled: 1-line block ×3, first 2 shown]
	s_wait_kmcnt 0x0
	v_cmp_lt_u64_e64 s2, s[6:7], 2
	s_delay_alu instid0(VALU_DEP_1)
	s_and_b32 vcc_lo, exec_lo, s2
	s_cbranch_vccnz .LBB0_8
; %bb.1:
	s_load_b64 s[2:3], s[0:1], 0x10
	v_mov_b32_e32 v1, 0
	v_mov_b32_e32 v2, 0
	s_add_nc_u64 s[12:13], s[10:11], 8
	s_mov_b64 s[14:15], 1
	s_wait_kmcnt 0x0
	s_add_nc_u64 s[16:17], s[2:3], 8
	s_mov_b32 s3, 0
.LBB0_2:                                ; =>This Inner Loop Header: Depth=1
	s_load_b64 s[18:19], s[16:17], 0x0
                                        ; implicit-def: $vgpr7_vgpr8
	s_mov_b32 s2, exec_lo
	s_wait_kmcnt 0x0
	v_or_b32_e32 v4, s19, v6
	s_delay_alu instid0(VALU_DEP_1)
	v_cmpx_ne_u64_e32 0, v[3:4]
	s_wait_alu 0xfffe
	s_xor_b32 s20, exec_lo, s2
	s_cbranch_execz .LBB0_4
; %bb.3:                                ;   in Loop: Header=BB0_2 Depth=1
	s_cvt_f32_u32 s2, s18
	s_cvt_f32_u32 s21, s19
	s_sub_nc_u64 s[24:25], 0, s[18:19]
	s_wait_alu 0xfffe
	s_delay_alu instid0(SALU_CYCLE_1) | instskip(SKIP_1) | instid1(SALU_CYCLE_2)
	s_fmamk_f32 s2, s21, 0x4f800000, s2
	s_wait_alu 0xfffe
	v_s_rcp_f32 s2, s2
	s_delay_alu instid0(TRANS32_DEP_1) | instskip(SKIP_1) | instid1(SALU_CYCLE_2)
	s_mul_f32 s2, s2, 0x5f7ffffc
	s_wait_alu 0xfffe
	s_mul_f32 s21, s2, 0x2f800000
	s_wait_alu 0xfffe
	s_delay_alu instid0(SALU_CYCLE_2) | instskip(SKIP_1) | instid1(SALU_CYCLE_2)
	s_trunc_f32 s21, s21
	s_wait_alu 0xfffe
	s_fmamk_f32 s2, s21, 0xcf800000, s2
	s_cvt_u32_f32 s23, s21
	s_wait_alu 0xfffe
	s_delay_alu instid0(SALU_CYCLE_1) | instskip(SKIP_1) | instid1(SALU_CYCLE_2)
	s_cvt_u32_f32 s22, s2
	s_wait_alu 0xfffe
	s_mul_u64 s[26:27], s[24:25], s[22:23]
	s_wait_alu 0xfffe
	s_mul_hi_u32 s29, s22, s27
	s_mul_i32 s28, s22, s27
	s_mul_hi_u32 s2, s22, s26
	s_mul_i32 s30, s23, s26
	s_wait_alu 0xfffe
	s_add_nc_u64 s[28:29], s[2:3], s[28:29]
	s_mul_hi_u32 s21, s23, s26
	s_mul_hi_u32 s31, s23, s27
	s_add_co_u32 s2, s28, s30
	s_wait_alu 0xfffe
	s_add_co_ci_u32 s2, s29, s21
	s_mul_i32 s26, s23, s27
	s_add_co_ci_u32 s27, s31, 0
	s_wait_alu 0xfffe
	s_add_nc_u64 s[26:27], s[2:3], s[26:27]
	s_wait_alu 0xfffe
	v_add_co_u32 v4, s2, s22, s26
	s_delay_alu instid0(VALU_DEP_1) | instskip(SKIP_1) | instid1(VALU_DEP_1)
	s_cmp_lg_u32 s2, 0
	s_add_co_ci_u32 s23, s23, s27
	v_readfirstlane_b32 s22, v4
	s_wait_alu 0xfffe
	s_delay_alu instid0(VALU_DEP_1)
	s_mul_u64 s[24:25], s[24:25], s[22:23]
	s_wait_alu 0xfffe
	s_mul_hi_u32 s27, s22, s25
	s_mul_i32 s26, s22, s25
	s_mul_hi_u32 s2, s22, s24
	s_mul_i32 s28, s23, s24
	s_wait_alu 0xfffe
	s_add_nc_u64 s[26:27], s[2:3], s[26:27]
	s_mul_hi_u32 s21, s23, s24
	s_mul_hi_u32 s22, s23, s25
	s_wait_alu 0xfffe
	s_add_co_u32 s2, s26, s28
	s_add_co_ci_u32 s2, s27, s21
	s_mul_i32 s24, s23, s25
	s_add_co_ci_u32 s25, s22, 0
	s_wait_alu 0xfffe
	s_add_nc_u64 s[24:25], s[2:3], s[24:25]
	s_wait_alu 0xfffe
	v_add_co_u32 v4, s2, v4, s24
	s_delay_alu instid0(VALU_DEP_1) | instskip(SKIP_1) | instid1(VALU_DEP_1)
	s_cmp_lg_u32 s2, 0
	s_add_co_ci_u32 s2, s23, s25
	v_mul_hi_u32 v13, v5, v4
	s_wait_alu 0xfffe
	v_mad_co_u64_u32 v[7:8], null, v5, s2, 0
	v_mad_co_u64_u32 v[9:10], null, v6, v4, 0
	;; [unrolled: 1-line block ×3, first 2 shown]
	s_delay_alu instid0(VALU_DEP_3) | instskip(SKIP_1) | instid1(VALU_DEP_4)
	v_add_co_u32 v4, vcc_lo, v13, v7
	s_wait_alu 0xfffd
	v_add_co_ci_u32_e32 v7, vcc_lo, 0, v8, vcc_lo
	s_delay_alu instid0(VALU_DEP_2) | instskip(SKIP_1) | instid1(VALU_DEP_2)
	v_add_co_u32 v4, vcc_lo, v4, v9
	s_wait_alu 0xfffd
	v_add_co_ci_u32_e32 v4, vcc_lo, v7, v10, vcc_lo
	s_wait_alu 0xfffd
	v_add_co_ci_u32_e32 v7, vcc_lo, 0, v12, vcc_lo
	s_delay_alu instid0(VALU_DEP_2) | instskip(SKIP_1) | instid1(VALU_DEP_2)
	v_add_co_u32 v4, vcc_lo, v4, v11
	s_wait_alu 0xfffd
	v_add_co_ci_u32_e32 v9, vcc_lo, 0, v7, vcc_lo
	s_delay_alu instid0(VALU_DEP_2) | instskip(SKIP_1) | instid1(VALU_DEP_3)
	v_mul_lo_u32 v10, s19, v4
	v_mad_co_u64_u32 v[7:8], null, s18, v4, 0
	v_mul_lo_u32 v11, s18, v9
	s_delay_alu instid0(VALU_DEP_2) | instskip(NEXT) | instid1(VALU_DEP_2)
	v_sub_co_u32 v7, vcc_lo, v5, v7
	v_add3_u32 v8, v8, v11, v10
	s_delay_alu instid0(VALU_DEP_1) | instskip(SKIP_1) | instid1(VALU_DEP_1)
	v_sub_nc_u32_e32 v10, v6, v8
	s_wait_alu 0xfffd
	v_subrev_co_ci_u32_e64 v10, s2, s19, v10, vcc_lo
	v_add_co_u32 v11, s2, v4, 2
	s_wait_alu 0xf1ff
	v_add_co_ci_u32_e64 v12, s2, 0, v9, s2
	v_sub_co_u32 v13, s2, v7, s18
	v_sub_co_ci_u32_e32 v8, vcc_lo, v6, v8, vcc_lo
	s_wait_alu 0xf1ff
	v_subrev_co_ci_u32_e64 v10, s2, 0, v10, s2
	s_delay_alu instid0(VALU_DEP_3) | instskip(NEXT) | instid1(VALU_DEP_3)
	v_cmp_le_u32_e32 vcc_lo, s18, v13
	v_cmp_eq_u32_e64 s2, s19, v8
	s_wait_alu 0xfffd
	v_cndmask_b32_e64 v13, 0, -1, vcc_lo
	v_cmp_le_u32_e32 vcc_lo, s19, v10
	s_wait_alu 0xfffd
	v_cndmask_b32_e64 v14, 0, -1, vcc_lo
	v_cmp_le_u32_e32 vcc_lo, s18, v7
	;; [unrolled: 3-line block ×3, first 2 shown]
	s_wait_alu 0xfffd
	v_cndmask_b32_e64 v15, 0, -1, vcc_lo
	v_cmp_eq_u32_e32 vcc_lo, s19, v10
	s_wait_alu 0xf1ff
	s_delay_alu instid0(VALU_DEP_2)
	v_cndmask_b32_e64 v7, v15, v7, s2
	s_wait_alu 0xfffd
	v_cndmask_b32_e32 v10, v14, v13, vcc_lo
	v_add_co_u32 v13, vcc_lo, v4, 1
	s_wait_alu 0xfffd
	v_add_co_ci_u32_e32 v14, vcc_lo, 0, v9, vcc_lo
	s_delay_alu instid0(VALU_DEP_3) | instskip(SKIP_2) | instid1(VALU_DEP_3)
	v_cmp_ne_u32_e32 vcc_lo, 0, v10
	s_wait_alu 0xfffd
	v_cndmask_b32_e32 v10, v13, v11, vcc_lo
	v_cndmask_b32_e32 v8, v14, v12, vcc_lo
	v_cmp_ne_u32_e32 vcc_lo, 0, v7
	s_wait_alu 0xfffd
	s_delay_alu instid0(VALU_DEP_2)
	v_dual_cndmask_b32 v7, v4, v10 :: v_dual_cndmask_b32 v8, v9, v8
.LBB0_4:                                ;   in Loop: Header=BB0_2 Depth=1
	s_wait_alu 0xfffe
	s_and_not1_saveexec_b32 s2, s20
	s_cbranch_execz .LBB0_6
; %bb.5:                                ;   in Loop: Header=BB0_2 Depth=1
	v_cvt_f32_u32_e32 v4, s18
	s_sub_co_i32 s20, 0, s18
	s_delay_alu instid0(VALU_DEP_1) | instskip(NEXT) | instid1(TRANS32_DEP_1)
	v_rcp_iflag_f32_e32 v4, v4
	v_mul_f32_e32 v4, 0x4f7ffffe, v4
	s_delay_alu instid0(VALU_DEP_1) | instskip(SKIP_1) | instid1(VALU_DEP_1)
	v_cvt_u32_f32_e32 v4, v4
	s_wait_alu 0xfffe
	v_mul_lo_u32 v7, s20, v4
	s_delay_alu instid0(VALU_DEP_1) | instskip(NEXT) | instid1(VALU_DEP_1)
	v_mul_hi_u32 v7, v4, v7
	v_add_nc_u32_e32 v4, v4, v7
	s_delay_alu instid0(VALU_DEP_1) | instskip(NEXT) | instid1(VALU_DEP_1)
	v_mul_hi_u32 v4, v5, v4
	v_mul_lo_u32 v7, v4, s18
	v_add_nc_u32_e32 v8, 1, v4
	s_delay_alu instid0(VALU_DEP_2) | instskip(NEXT) | instid1(VALU_DEP_1)
	v_sub_nc_u32_e32 v7, v5, v7
	v_subrev_nc_u32_e32 v9, s18, v7
	v_cmp_le_u32_e32 vcc_lo, s18, v7
	s_wait_alu 0xfffd
	s_delay_alu instid0(VALU_DEP_2) | instskip(NEXT) | instid1(VALU_DEP_1)
	v_dual_cndmask_b32 v7, v7, v9 :: v_dual_cndmask_b32 v4, v4, v8
	v_cmp_le_u32_e32 vcc_lo, s18, v7
	s_delay_alu instid0(VALU_DEP_2) | instskip(SKIP_1) | instid1(VALU_DEP_1)
	v_add_nc_u32_e32 v8, 1, v4
	s_wait_alu 0xfffd
	v_dual_cndmask_b32 v7, v4, v8 :: v_dual_mov_b32 v8, v3
.LBB0_6:                                ;   in Loop: Header=BB0_2 Depth=1
	s_wait_alu 0xfffe
	s_or_b32 exec_lo, exec_lo, s2
	s_load_b64 s[20:21], s[12:13], 0x0
	s_delay_alu instid0(VALU_DEP_1)
	v_mul_lo_u32 v4, v8, s18
	v_mul_lo_u32 v11, v7, s19
	v_mad_co_u64_u32 v[9:10], null, v7, s18, 0
	s_add_nc_u64 s[14:15], s[14:15], 1
	s_add_nc_u64 s[12:13], s[12:13], 8
	s_wait_alu 0xfffe
	v_cmp_ge_u64_e64 s2, s[14:15], s[6:7]
	s_add_nc_u64 s[16:17], s[16:17], 8
	s_delay_alu instid0(VALU_DEP_2) | instskip(NEXT) | instid1(VALU_DEP_3)
	v_add3_u32 v4, v10, v11, v4
	v_sub_co_u32 v5, vcc_lo, v5, v9
	s_wait_alu 0xfffd
	s_delay_alu instid0(VALU_DEP_2) | instskip(SKIP_3) | instid1(VALU_DEP_2)
	v_sub_co_ci_u32_e32 v4, vcc_lo, v6, v4, vcc_lo
	s_and_b32 vcc_lo, exec_lo, s2
	s_wait_kmcnt 0x0
	v_mul_lo_u32 v6, s21, v5
	v_mul_lo_u32 v4, s20, v4
	v_mad_co_u64_u32 v[1:2], null, s20, v5, v[1:2]
	s_delay_alu instid0(VALU_DEP_1)
	v_add3_u32 v2, v6, v2, v4
	s_wait_alu 0xfffe
	s_cbranch_vccnz .LBB0_9
; %bb.7:                                ;   in Loop: Header=BB0_2 Depth=1
	v_dual_mov_b32 v5, v7 :: v_dual_mov_b32 v6, v8
	s_branch .LBB0_2
.LBB0_8:
	v_dual_mov_b32 v8, v6 :: v_dual_mov_b32 v7, v5
.LBB0_9:
	s_lshl_b64 s[2:3], s[6:7], 3
	v_mul_hi_u32 v4, 0x13b13b2, v0
	s_wait_alu 0xfffe
	s_add_nc_u64 s[2:3], s[10:11], s[2:3]
	s_load_b64 s[2:3], s[2:3], 0x0
	s_load_b64 s[0:1], s[0:1], 0x20
	s_wait_kmcnt 0x0
	v_mul_lo_u32 v5, s2, v8
	v_mul_lo_u32 v6, s3, v7
	v_mad_co_u64_u32 v[2:3], null, s2, v7, v[1:2]
	v_mul_u32_u24_e32 v1, 0xd0, v4
	v_cmp_gt_u64_e32 vcc_lo, s[0:1], v[7:8]
	s_delay_alu instid0(VALU_DEP_2) | instskip(NEXT) | instid1(VALU_DEP_4)
	v_sub_nc_u32_e32 v0, v0, v1
	v_add3_u32 v3, v6, v3, v5
	s_delay_alu instid0(VALU_DEP_2) | instskip(NEXT) | instid1(VALU_DEP_2)
	v_dual_mov_b32 v1, 0 :: v_dual_mov_b32 v24, v0
	v_lshlrev_b64_e32 v[26:27], 3, v[2:3]
	s_and_saveexec_b32 s1, vcc_lo
	s_cbranch_execz .LBB0_13
; %bb.10:
	s_delay_alu instid0(VALU_DEP_2) | instskip(NEXT) | instid1(VALU_DEP_2)
	v_lshlrev_b64_e32 v[4:5], 3, v[0:1]
	v_add_co_u32 v2, s0, s8, v26
	s_wait_alu 0xf1ff
	v_add_co_ci_u32_e64 v3, s0, s9, v27, s0
	v_lshl_add_u32 v22, v0, 3, 0
	s_delay_alu instid0(VALU_DEP_3) | instskip(SKIP_1) | instid1(VALU_DEP_3)
	v_add_co_u32 v4, s0, v2, v4
	s_wait_alu 0xf1ff
	v_add_co_ci_u32_e64 v5, s0, v3, v5, s0
	s_delay_alu instid0(VALU_DEP_3)
	v_add_nc_u32_e32 v24, 0x1a00, v22
	v_add_nc_u32_e32 v23, 0xc00, v22
	;; [unrolled: 1-line block ×3, first 2 shown]
	s_clause 0x7
	global_load_b64 v[6:7], v[4:5], off
	global_load_b64 v[8:9], v[4:5], off offset:1664
	global_load_b64 v[10:11], v[4:5], off offset:3328
	;; [unrolled: 1-line block ×7, first 2 shown]
	v_dual_mov_b32 v5, v1 :: v_dual_mov_b32 v4, v0
	s_mov_b32 s2, exec_lo
	s_wait_loadcnt 0x6
	ds_store_2addr_b64 v22, v[6:7], v[8:9] offset1:208
	s_wait_loadcnt 0x4
	ds_store_2addr_b64 v23, v[10:11], v[12:13] offset0:32 offset1:240
	s_wait_loadcnt 0x2
	ds_store_2addr_b64 v24, v[14:15], v[16:17] offset1:208
	s_wait_loadcnt 0x0
	ds_store_2addr_b64 v25, v[18:19], v[20:21] offset0:32 offset1:240
	v_cmpx_eq_u32_e32 0xcf, v0
	s_cbranch_execz .LBB0_12
; %bb.11:
	global_load_b64 v[1:2], v[2:3], off offset:13312
	v_dual_mov_b32 v3, 0 :: v_dual_mov_b32 v4, 0xcf
	v_dual_mov_b32 v5, 0 :: v_dual_mov_b32 v0, 0xcf
	s_wait_loadcnt 0x0
	ds_store_b64 v3, v[1:2] offset:13312
.LBB0_12:
	s_wait_alu 0xfffe
	s_or_b32 exec_lo, exec_lo, s2
	v_mov_b32_e32 v24, v0
	v_dual_mov_b32 v0, v4 :: v_dual_mov_b32 v1, v5
.LBB0_13:
	s_wait_alu 0xfffe
	s_or_b32 exec_lo, exec_lo, s1
	s_delay_alu instid0(VALU_DEP_2)
	v_lshlrev_b32_e32 v2, 3, v24
	global_wb scope:SCOPE_SE
	s_wait_dscnt 0x0
	s_barrier_signal -1
	s_barrier_wait -1
	global_inv scope:SCOPE_SE
	v_add_nc_u32_e32 v36, 0, v2
	v_sub_nc_u32_e32 v2, 0, v2
	v_lshlrev_b64_e32 v[30:31], 3, v[0:1]
	s_mov_b32 s1, exec_lo
	ds_load_b32 v3, v36
	ds_load_b32 v4, v2 offset:13312
	s_wait_dscnt 0x0
	v_dual_sub_f32 v1, v3, v4 :: v_dual_add_f32 v0, v4, v3
	v_cmpx_ne_u32_e32 0, v24
	s_wait_alu 0xfffe
	s_xor_b32 s1, exec_lo, s1
	s_cbranch_execz .LBB0_15
; %bb.14:
	v_add_co_u32 v0, s0, s4, v30
	s_wait_alu 0xf1ff
	v_add_co_ci_u32_e64 v1, s0, s5, v31, s0
	v_dual_add_f32 v7, v4, v3 :: v_dual_sub_f32 v8, v3, v4
	global_load_b64 v[5:6], v[0:1], off offset:13208
	ds_load_b32 v0, v2 offset:13316
	ds_load_b32 v1, v36 offset:4
	s_wait_dscnt 0x0
	v_dual_add_f32 v9, v0, v1 :: v_dual_sub_f32 v0, v1, v0
	s_wait_loadcnt 0x0
	v_fma_f32 v3, -v8, v6, v7
	s_delay_alu instid0(VALU_DEP_2) | instskip(SKIP_2) | instid1(VALU_DEP_4)
	v_fma_f32 v4, v9, v6, -v0
	v_fma_f32 v10, v8, v6, v7
	v_fma_f32 v1, v9, v6, v0
	v_fmac_f32_e32 v3, v5, v9
	s_delay_alu instid0(VALU_DEP_4) | instskip(NEXT) | instid1(VALU_DEP_4)
	v_fmac_f32_e32 v4, v8, v5
	v_fma_f32 v0, -v5, v9, v10
	s_delay_alu instid0(VALU_DEP_4)
	v_fmac_f32_e32 v1, v8, v5
	ds_store_b64 v2, v[3:4] offset:13312
.LBB0_15:
	s_wait_alu 0xfffe
	s_and_not1_saveexec_b32 s0, s1
	s_cbranch_execz .LBB0_17
; %bb.16:
	v_mov_b32_e32 v5, 0
	ds_load_b64 v[3:4], v5 offset:6656
	s_wait_dscnt 0x0
	v_dual_mul_f32 v4, -2.0, v4 :: v_dual_add_f32 v3, v3, v3
	ds_store_b64 v5, v[3:4] offset:6656
.LBB0_17:
	s_wait_alu 0xfffe
	s_or_b32 exec_lo, exec_lo, s0
	v_mov_b32_e32 v25, 0
	s_add_nc_u64 s[0:1], s[4:5], 0x3398
	s_delay_alu instid0(VALU_DEP_1) | instskip(SKIP_1) | instid1(VALU_DEP_1)
	v_lshlrev_b64_e32 v[28:29], 3, v[24:25]
	s_wait_alu 0xfffe
	v_add_co_u32 v3, s0, s0, v28
	s_wait_alu 0xf1ff
	s_delay_alu instid0(VALU_DEP_2)
	v_add_co_ci_u32_e64 v4, s0, s1, v29, s0
	s_mov_b32 s1, exec_lo
	s_clause 0x2
	global_load_b64 v[5:6], v[3:4], off offset:1664
	global_load_b64 v[7:8], v[3:4], off offset:3328
	;; [unrolled: 1-line block ×3, first 2 shown]
	ds_store_b64 v36, v[0:1]
	ds_load_b64 v[0:1], v36 offset:1664
	ds_load_b64 v[9:10], v2 offset:11648
	s_wait_dscnt 0x0
	v_add_f32_e32 v12, v10, v1
	v_add_f32_e32 v11, v0, v9
	v_dual_sub_f32 v13, v0, v9 :: v_dual_sub_f32 v0, v1, v10
	s_wait_loadcnt 0x2
	s_delay_alu instid0(VALU_DEP_1) | instskip(NEXT) | instid1(VALU_DEP_2)
	v_fma_f32 v14, v13, v6, v11
	v_fma_f32 v1, v12, v6, v0
	v_fma_f32 v9, -v13, v6, v11
	v_fma_f32 v10, v12, v6, -v0
	s_delay_alu instid0(VALU_DEP_4) | instskip(NEXT) | instid1(VALU_DEP_4)
	v_fma_f32 v0, -v5, v12, v14
	v_fmac_f32_e32 v1, v13, v5
	s_delay_alu instid0(VALU_DEP_4) | instskip(NEXT) | instid1(VALU_DEP_4)
	v_fmac_f32_e32 v9, v5, v12
	v_fmac_f32_e32 v10, v13, v5
	ds_store_b64 v36, v[0:1] offset:1664
	ds_store_b64 v2, v[9:10] offset:11648
	ds_load_b64 v[0:1], v36 offset:3328
	ds_load_b64 v[5:6], v2 offset:9984
	s_wait_dscnt 0x0
	v_add_f32_e32 v9, v0, v5
	v_add_f32_e32 v10, v6, v1
	v_dual_sub_f32 v11, v0, v5 :: v_dual_sub_f32 v0, v1, v6
	s_wait_loadcnt 0x1
	s_delay_alu instid0(VALU_DEP_1) | instskip(NEXT) | instid1(VALU_DEP_2)
	v_fma_f32 v12, v11, v8, v9
	v_fma_f32 v1, v10, v8, v0
	v_fma_f32 v5, -v11, v8, v9
	v_fma_f32 v6, v10, v8, -v0
	s_delay_alu instid0(VALU_DEP_4) | instskip(NEXT) | instid1(VALU_DEP_4)
	v_fma_f32 v0, -v7, v10, v12
	v_fmac_f32_e32 v1, v11, v7
	s_delay_alu instid0(VALU_DEP_4) | instskip(NEXT) | instid1(VALU_DEP_4)
	v_fmac_f32_e32 v5, v7, v10
	v_fmac_f32_e32 v6, v11, v7
	ds_store_b64 v36, v[0:1] offset:3328
	ds_store_b64 v2, v[5:6] offset:9984
	ds_load_b64 v[0:1], v36 offset:4992
	ds_load_b64 v[5:6], v2 offset:8320
	s_wait_dscnt 0x0
	v_add_f32_e32 v8, v6, v1
	v_add_f32_e32 v7, v0, v5
	v_dual_sub_f32 v9, v0, v5 :: v_dual_sub_f32 v0, v1, v6
	s_wait_loadcnt 0x0
	s_delay_alu instid0(VALU_DEP_1) | instskip(NEXT) | instid1(VALU_DEP_2)
	v_fma_f32 v10, v9, v4, v7
	v_fma_f32 v1, v8, v4, v0
	v_fma_f32 v5, -v9, v4, v7
	v_fma_f32 v6, v8, v4, -v0
	s_delay_alu instid0(VALU_DEP_4) | instskip(NEXT) | instid1(VALU_DEP_4)
	v_fma_f32 v0, -v3, v8, v10
	v_fmac_f32_e32 v1, v9, v3
	s_delay_alu instid0(VALU_DEP_3)
	v_dual_fmac_f32 v5, v3, v8 :: v_dual_fmac_f32 v6, v9, v3
	ds_store_b64 v36, v[0:1] offset:4992
	ds_store_b64 v2, v[5:6] offset:8320
	global_wb scope:SCOPE_SE
	s_wait_dscnt 0x0
	s_barrier_signal -1
	s_barrier_wait -1
	global_inv scope:SCOPE_SE
	global_wb scope:SCOPE_SE
	s_barrier_signal -1
	s_barrier_wait -1
	global_inv scope:SCOPE_SE
	ds_load_2addr_stride64_b64 v[0:3], v36 offset1:2
	ds_load_2addr_stride64_b64 v[20:23], v36 offset0:4 offset1:6
	ds_load_2addr_stride64_b64 v[16:19], v36 offset0:8 offset1:10
	;; [unrolled: 1-line block ×5, first 2 shown]
	ds_load_b64 v[34:35], v36 offset:12288
	global_wb scope:SCOPE_SE
	s_wait_dscnt 0x0
	s_barrier_signal -1
	s_barrier_wait -1
	global_inv scope:SCOPE_SE
	v_cmpx_gt_u32_e32 0x80, v24
	s_cbranch_execz .LBB0_19
; %bb.18:
	v_dual_add_f32 v73, v35, v3 :: v_dual_sub_f32 v40, v2, v34
	v_dual_add_f32 v71, v7, v21 :: v_dual_add_f32 v68, v5, v23
	s_delay_alu instid0(VALU_DEP_2) | instskip(NEXT) | instid1(VALU_DEP_2)
	v_dual_sub_f32 v37, v20, v6 :: v_dual_mul_f32 v50, 0xbf788fa5, v73
	v_dual_add_f32 v66, v11, v17 :: v_dual_mul_f32 v51, 0x3f62ad3f, v71
	v_dual_sub_f32 v38, v22, v4 :: v_dual_sub_f32 v25, v16, v10
	s_delay_alu instid0(VALU_DEP_3) | instskip(SKIP_3) | instid1(VALU_DEP_4)
	v_dual_fmamk_f32 v32, v40, 0x3e750f2a, v50 :: v_dual_add_f32 v67, v9, v19
	v_dual_sub_f32 v39, v18, v8 :: v_dual_sub_f32 v76, v3, v35
	v_dual_mul_f32 v48, 0xbf3f9e67, v68 :: v_dual_add_f32 v41, v34, v2
	v_dual_fmamk_f32 v33, v37, 0xbeedf032, v51 :: v_dual_add_f32 v42, v6, v20
	v_dual_add_f32 v32, v1, v32 :: v_dual_mul_f32 v49, 0x3f116cb1, v66
	s_delay_alu instid0(VALU_DEP_3) | instskip(SKIP_1) | instid1(VALU_DEP_3)
	v_fmamk_f32 v43, v38, 0x3f29c268, v48
	v_dual_mul_f32 v60, 0xbe750f2a, v76 :: v_dual_sub_f32 v77, v21, v7
	v_add_f32_e32 v32, v33, v32
	s_delay_alu instid0(VALU_DEP_4)
	v_fmamk_f32 v33, v25, 0xbf52af12, v49
	v_mul_f32_e32 v52, 0xbeb58ec6, v67
	v_sub_f32_e32 v78, v23, v5
	v_dual_mul_f32 v69, 0xbf3f9e67, v73 :: v_dual_add_f32 v2, v0, v2
	v_dual_add_f32 v32, v43, v32 :: v_dual_fmamk_f32 v43, v41, 0xbf788fa5, v60
	v_mul_f32_e32 v61, 0x3eedf032, v77
	s_delay_alu instid0(VALU_DEP_4) | instskip(NEXT) | instid1(VALU_DEP_3)
	v_dual_mul_f32 v64, 0xbf29c268, v78 :: v_dual_sub_f32 v79, v17, v11
	v_add_f32_e32 v32, v33, v32
	s_delay_alu instid0(VALU_DEP_3) | instskip(SKIP_4) | instid1(VALU_DEP_4)
	v_dual_add_f32 v44, v0, v43 :: v_dual_fmamk_f32 v45, v42, 0x3f62ad3f, v61
	v_add_f32_e32 v43, v4, v22
	v_fmamk_f32 v33, v39, 0x3f6f5d39, v52
	v_add_f32_e32 v75, v15, v13
	v_dual_mul_f32 v59, 0x3f52af12, v79 :: v_dual_sub_f32 v80, v19, v9
	v_fmamk_f32 v46, v43, 0xbf3f9e67, v64
	s_delay_alu instid0(VALU_DEP_4) | instskip(SKIP_3) | instid1(VALU_DEP_3)
	v_add_f32_e32 v32, v33, v32
	v_add_f32_e32 v33, v45, v44
	v_dual_add_f32 v45, v10, v16 :: v_dual_mul_f32 v56, 0x3df6dbef, v75
	v_sub_f32_e32 v44, v12, v14
	v_dual_mul_f32 v72, 0x3f116cb1, v68 :: v_dual_add_f32 v33, v46, v33
	s_delay_alu instid0(VALU_DEP_3) | instskip(NEXT) | instid1(VALU_DEP_3)
	v_dual_add_f32 v46, v8, v18 :: v_dual_fmamk_f32 v47, v45, 0x3f116cb1, v59
	v_dual_fmamk_f32 v53, v44, 0xbf7e222b, v56 :: v_dual_sub_f32 v74, v13, v15
	v_mul_f32_e32 v70, 0x3df6dbef, v71
	v_add_f32_e32 v2, v2, v20
	s_delay_alu instid0(VALU_DEP_4) | instskip(SKIP_4) | instid1(VALU_DEP_4)
	v_add_f32_e32 v54, v47, v33
	v_mul_f32_e32 v62, 0xbf6f5d39, v80
	v_add_f32_e32 v47, v14, v12
	v_dual_add_f32 v33, v53, v32 :: v_dual_fmamk_f32 v32, v40, 0x3f29c268, v69
	v_fmamk_f32 v58, v37, 0xbf7e222b, v70
	v_fmamk_f32 v55, v46, 0xbeb58ec6, v62
	v_mul_f32_e32 v94, 0x3eedf032, v79
	v_mul_f32_e32 v101, 0xbeb58ec6, v71
	v_add_f32_e32 v57, v1, v32
	v_mul_f32_e32 v63, 0xbf29c268, v76
	v_add_f32_e32 v53, v55, v54
	v_mul_f32_e32 v65, 0x3f7e222b, v74
	v_mul_f32_e32 v55, 0x3f7e222b, v77
	v_dual_add_f32 v58, v58, v57 :: v_dual_add_f32 v3, v1, v3
	v_mul_f32_e32 v96, 0xbf52af12, v80
	s_delay_alu instid0(VALU_DEP_4) | instskip(NEXT) | instid1(VALU_DEP_4)
	v_fmamk_f32 v54, v47, 0x3df6dbef, v65
	v_fmamk_f32 v82, v42, 0x3df6dbef, v55
	v_mul_f32_e32 v100, 0xbf52af12, v76
	v_mul_f32_e32 v98, 0x3f116cb1, v73
	;; [unrolled: 1-line block ×3, first 2 shown]
	v_add_f32_e32 v32, v54, v53
	v_mul_f32_e32 v54, 0xbf52af12, v78
	v_add_f32_e32 v2, v2, v22
	v_fmac_f32_e32 v70, 0x3f7e222b, v37
	v_mul_f32_e32 v107, 0x3df6dbef, v67
	v_dual_fmac_f32 v48, 0xbf29c268, v38 :: v_dual_fmac_f32 v69, 0xbf29c268, v40
	v_fmamk_f32 v84, v43, 0x3f116cb1, v54
	v_fmamk_f32 v53, v41, 0xbf3f9e67, v63
	v_fma_f32 v61, 0x3f62ad3f, v42, -v61
	v_dual_add_f32 v3, v3, v21 :: v_dual_add_f32 v2, v2, v16
	v_mul_f32_e32 v21, 0x3eedf032, v80
	s_delay_alu instid0(VALU_DEP_4) | instskip(SKIP_1) | instid1(VALU_DEP_4)
	v_add_f32_e32 v53, v0, v53
	v_mul_f32_e32 v57, 0xbf788fa5, v66
	v_add_f32_e32 v3, v3, v23
	v_mul_f32_e32 v22, 0xbf3f9e67, v71
	s_delay_alu instid0(VALU_DEP_4) | instskip(SKIP_2) | instid1(VALU_DEP_4)
	v_dual_mul_f32 v87, 0x3f62ad3f, v68 :: v_dual_add_f32 v82, v82, v53
	v_mul_f32_e32 v53, 0x3e750f2a, v79
	v_fmamk_f32 v83, v25, 0xbe750f2a, v57
	v_dual_add_f32 v3, v3, v17 :: v_dual_fmamk_f32 v86, v37, 0xbf29c268, v22
	s_delay_alu instid0(VALU_DEP_4) | instskip(NEXT) | instid1(VALU_DEP_4)
	v_add_f32_e32 v82, v84, v82
	v_fmamk_f32 v20, v45, 0xbf788fa5, v53
	v_fmamk_f32 v81, v38, 0x3f52af12, v72
	s_delay_alu instid0(VALU_DEP_4) | instskip(SKIP_1) | instid1(VALU_DEP_4)
	v_dual_add_f32 v2, v2, v18 :: v_dual_add_f32 v3, v3, v19
	v_fmac_f32_e32 v72, 0xbf52af12, v38
	v_add_f32_e32 v20, v20, v82
	s_delay_alu instid0(VALU_DEP_4) | instskip(NEXT) | instid1(VALU_DEP_4)
	v_dual_add_f32 v81, v81, v58 :: v_dual_mul_f32 v58, 0x3f62ad3f, v67
	v_dual_fmamk_f32 v82, v46, 0x3f62ad3f, v21 :: v_dual_add_f32 v3, v3, v13
	s_delay_alu instid0(VALU_DEP_2) | instskip(SKIP_1) | instid1(VALU_DEP_3)
	v_dual_mul_f32 v18, 0xbf6f5d39, v76 :: v_dual_add_f32 v81, v83, v81
	v_mul_f32_e32 v83, 0xbeb58ec6, v73
	v_dual_mul_f32 v23, 0xbeb58ec6, v75 :: v_dual_add_f32 v20, v82, v20
	s_delay_alu instid0(VALU_DEP_4) | instskip(NEXT) | instid1(VALU_DEP_3)
	v_dual_add_f32 v2, v2, v12 :: v_dual_add_f32 v13, v3, v15
	v_fmamk_f32 v84, v40, 0x3f6f5d39, v83
	v_fmac_f32_e32 v83, 0xbf6f5d39, v40
	v_fma_f32 v21, 0x3f62ad3f, v46, -v21
	v_fmac_f32_e32 v22, 0x3f29c268, v37
	v_add_f32_e32 v9, v13, v9
	v_dual_add_f32 v84, v1, v84 :: v_dual_fmamk_f32 v85, v39, 0xbeedf032, v58
	v_dual_fmac_f32 v51, 0x3eedf032, v37 :: v_dual_fmac_f32 v58, 0x3eedf032, v39
	s_delay_alu instid0(VALU_DEP_2) | instskip(NEXT) | instid1(VALU_DEP_3)
	v_dual_add_f32 v9, v9, v11 :: v_dual_add_f32 v16, v86, v84
	v_dual_mul_f32 v84, 0x3df6dbef, v66 :: v_dual_add_f32 v81, v85, v81
	v_fmamk_f32 v82, v41, 0xbeb58ec6, v18
	v_fmamk_f32 v17, v38, 0xbeedf032, v87
	v_dual_mul_f32 v85, 0x3f29c268, v77 :: v_dual_add_f32 v14, v2, v14
	v_dual_mul_f32 v88, 0xbf788fa5, v67 :: v_dual_add_f32 v5, v9, v5
	s_delay_alu instid0(VALU_DEP_4) | instskip(NEXT) | instid1(VALU_DEP_4)
	v_add_f32_e32 v12, v0, v82
	v_dual_fmamk_f32 v19, v44, 0x3f6f5d39, v23 :: v_dual_add_f32 v16, v17, v16
	v_fmamk_f32 v17, v25, 0x3f7e222b, v84
	v_mul_f32_e32 v86, 0xbf6f5d39, v74
	v_fmamk_f32 v2, v42, 0xbf3f9e67, v85
	s_delay_alu instid0(VALU_DEP_4) | instskip(SKIP_1) | instid1(VALU_DEP_4)
	v_dual_add_f32 v8, v14, v8 :: v_dual_add_f32 v3, v19, v81
	v_mul_f32_e32 v81, 0xbf788fa5, v71
	v_dual_add_f32 v15, v17, v16 :: v_dual_fmamk_f32 v16, v47, 0xbeb58ec6, v86
	s_delay_alu instid0(VALU_DEP_4) | instskip(NEXT) | instid1(VALU_DEP_4)
	v_dual_add_f32 v12, v2, v12 :: v_dual_mul_f32 v89, 0xbf7e222b, v79
	v_dual_add_f32 v8, v8, v10 :: v_dual_mul_f32 v91, 0xbeb58ec6, v68
	s_delay_alu instid0(VALU_DEP_3) | instskip(SKIP_1) | instid1(VALU_DEP_3)
	v_add_f32_e32 v2, v16, v20
	v_dual_mul_f32 v20, 0x3df6dbef, v73 :: v_dual_add_f32 v5, v5, v7
	v_add_f32_e32 v4, v8, v4
	v_fmamk_f32 v14, v45, 0x3f62ad3f, v94
	v_mul_f32_e32 v92, 0x3f6f5d39, v78
	s_delay_alu instid0(VALU_DEP_4) | instskip(SKIP_3) | instid1(VALU_DEP_4)
	v_fmamk_f32 v10, v40, 0x3f7e222b, v20
	v_fmamk_f32 v16, v39, 0xbe750f2a, v88
	v_dual_add_f32 v4, v4, v6 :: v_dual_add_f32 v5, v5, v35
	v_mul_f32_e32 v35, 0x3f52af12, v74
	v_add_f32_e32 v9, v1, v10
	s_delay_alu instid0(VALU_DEP_4) | instskip(NEXT) | instid1(VALU_DEP_4)
	v_dual_mul_f32 v82, 0x3eedf032, v78 :: v_dual_add_f32 v13, v16, v15
	v_add_f32_e32 v4, v4, v34
	v_mul_f32_e32 v34, 0xbe750f2a, v77
	v_mul_f32_e32 v103, 0xbf788fa5, v68
	s_delay_alu instid0(VALU_DEP_4)
	v_fmamk_f32 v17, v43, 0x3f62ad3f, v82
	v_mul_f32_e32 v19, 0x3f116cb1, v75
	v_mul_f32_e32 v16, 0x3e750f2a, v80
	v_fmamk_f32 v10, v42, 0xbf788fa5, v34
	v_mul_f32_e32 v90, 0xbf7e222b, v76
	v_add_f32_e32 v12, v17, v12
	v_fmamk_f32 v17, v45, 0x3df6dbef, v89
	v_fmamk_f32 v11, v44, 0xbf52af12, v19
	;; [unrolled: 1-line block ×5, first 2 shown]
	v_dual_add_f32 v12, v17, v12 :: v_dual_mul_f32 v93, 0x3f62ad3f, v66
	s_delay_alu instid0(VALU_DEP_4) | instskip(SKIP_2) | instid1(VALU_DEP_4)
	v_add_f32_e32 v6, v6, v9
	v_fmamk_f32 v9, v38, 0xbf6f5d39, v91
	v_add_f32_e32 v7, v0, v7
	v_dual_add_f32 v8, v8, v12 :: v_dual_mul_f32 v95, 0x3f116cb1, v67
	s_delay_alu instid0(VALU_DEP_3) | instskip(NEXT) | instid1(VALU_DEP_3)
	v_dual_mul_f32 v71, 0x3f116cb1, v71 :: v_dual_add_f32 v6, v9, v6
	v_add_f32_e32 v7, v10, v7
	v_fmamk_f32 v9, v43, 0xbeb58ec6, v92
	v_fmamk_f32 v10, v47, 0x3f116cb1, v35
	s_delay_alu instid0(VALU_DEP_4)
	v_fmamk_f32 v17, v37, 0x3f52af12, v71
	v_mul_f32_e32 v108, 0x3f7e222b, v80
	v_fmamk_f32 v15, v39, 0x3f52af12, v95
	v_add_f32_e32 v9, v9, v7
	v_add_f32_e32 v7, v11, v13
	v_mul_f32_e32 v97, 0xbf3f9e67, v75
	v_fmamk_f32 v13, v41, 0x3f116cb1, v100
	v_mul_f32_e32 v99, 0xbf29c268, v74
	v_dual_add_f32 v9, v14, v9 :: v_dual_fmamk_f32 v14, v37, 0x3f6f5d39, v101
	s_delay_alu instid0(VALU_DEP_3) | instskip(SKIP_3) | instid1(VALU_DEP_4)
	v_dual_fmamk_f32 v12, v25, 0xbeedf032, v93 :: v_dual_add_f32 v13, v0, v13
	v_mul_f32_e32 v106, 0x3f29c268, v79
	v_mul_f32_e32 v105, 0xbf3f9e67, v66
	;; [unrolled: 1-line block ×3, first 2 shown]
	v_dual_add_f32 v12, v12, v6 :: v_dual_fmamk_f32 v11, v46, 0x3f116cb1, v96
	v_dual_add_f32 v6, v10, v8 :: v_dual_mul_f32 v73, 0x3f62ad3f, v73
	v_mul_f32_e32 v110, 0x3eedf032, v74
	s_delay_alu instid0(VALU_DEP_3) | instskip(NEXT) | instid1(VALU_DEP_4)
	v_add_f32_e32 v8, v15, v12
	v_dual_add_f32 v10, v11, v9 :: v_dual_fmamk_f32 v9, v44, 0x3f29c268, v97
	v_fmamk_f32 v15, v42, 0xbeb58ec6, v102
	v_mul_f32_e32 v104, 0xbe750f2a, v78
	v_fmamk_f32 v12, v47, 0xbf3f9e67, v99
	v_mul_f32_e32 v68, 0x3df6dbef, v68
	v_add_f32_e32 v9, v9, v8
	v_add_f32_e32 v13, v15, v13
	s_delay_alu instid0(VALU_DEP_4) | instskip(SKIP_3) | instid1(VALU_DEP_4)
	v_dual_fmamk_f32 v15, v43, 0xbf788fa5, v104 :: v_dual_add_f32 v8, v12, v10
	v_mul_f32_e32 v77, 0xbf52af12, v77
	v_fmac_f32_e32 v87, 0x3eedf032, v38
	v_fmac_f32_e32 v49, 0x3f52af12, v25
	v_add_f32_e32 v13, v15, v13
	v_fmamk_f32 v15, v45, 0xbf3f9e67, v106
	v_fmamk_f32 v111, v42, 0x3f116cb1, v77
	v_mul_f32_e32 v79, 0xbf6f5d39, v79
	v_mul_f32_e32 v67, 0xbf3f9e67, v67
	v_fma_f32 v18, 0xbeb58ec6, v41, -v18
	v_add_f32_e32 v13, v15, v13
	v_fmamk_f32 v15, v46, 0x3df6dbef, v108
	v_fmamk_f32 v11, v40, 0x3f52af12, v98
	v_fmac_f32_e32 v19, 0x3f52af12, v44
	v_fmac_f32_e32 v97, 0xbf29c268, v44
	;; [unrolled: 1-line block ×3, first 2 shown]
	s_delay_alu instid0(VALU_DEP_4)
	v_dual_add_f32 v12, v15, v13 :: v_dual_add_f32 v11, v1, v11
	v_fmamk_f32 v13, v40, 0x3eedf032, v73
	v_mul_f32_e32 v109, 0x3f62ad3f, v75
	v_mul_f32_e32 v76, 0xbeedf032, v76
	v_fmac_f32_e32 v52, 0xbf6f5d39, v39
	v_add_f32_e32 v11, v14, v11
	v_dual_fmamk_f32 v14, v38, 0x3e750f2a, v103 :: v_dual_add_f32 v13, v1, v13
	s_delay_alu instid0(VALU_DEP_4) | instskip(SKIP_1) | instid1(VALU_DEP_3)
	v_fmamk_f32 v15, v41, 0x3f62ad3f, v76
	v_fmac_f32_e32 v56, 0x3f7e222b, v44
	v_dual_mul_f32 v80, 0xbf29c268, v80 :: v_dual_add_f32 v11, v14, v11
	s_delay_alu instid0(VALU_DEP_3) | instskip(SKIP_2) | instid1(VALU_DEP_3)
	v_dual_fmamk_f32 v14, v25, 0xbf29c268, v105 :: v_dual_add_f32 v15, v0, v15
	v_add_f32_e32 v13, v17, v13
	v_fmamk_f32 v17, v38, 0x3f7e222b, v68
	v_dual_mul_f32 v78, 0xbf7e222b, v78 :: v_dual_add_f32 v11, v14, v11
	s_delay_alu instid0(VALU_DEP_4) | instskip(NEXT) | instid1(VALU_DEP_3)
	v_add_f32_e32 v15, v111, v15
	v_dual_fmamk_f32 v14, v39, 0xbf7e222b, v107 :: v_dual_add_f32 v13, v17, v13
	s_delay_alu instid0(VALU_DEP_3) | instskip(SKIP_1) | instid1(VALU_DEP_3)
	v_fmamk_f32 v111, v43, 0x3df6dbef, v78
	v_fmamk_f32 v17, v25, 0x3f6f5d39, v66
	v_dual_fmac_f32 v103, 0xbe750f2a, v38 :: v_dual_add_f32 v10, v14, v11
	v_fmamk_f32 v14, v47, 0x3f62ad3f, v110
	v_fmamk_f32 v11, v44, 0xbeedf032, v109
	v_add_f32_e32 v15, v111, v15
	v_fmamk_f32 v111, v45, 0xbeb58ec6, v79
	v_add_f32_e32 v13, v17, v13
	v_fmamk_f32 v17, v39, 0x3f29c268, v67
	v_dual_add_f32 v11, v11, v10 :: v_dual_add_f32 v10, v14, v12
	s_delay_alu instid0(VALU_DEP_4) | instskip(NEXT) | instid1(VALU_DEP_3)
	v_add_f32_e32 v15, v111, v15
	v_dual_fmamk_f32 v111, v46, 0xbf3f9e67, v80 :: v_dual_add_f32 v12, v17, v13
	v_fma_f32 v13, 0xbf788fa5, v41, -v60
	v_mul_f32_e32 v60, 0xbe750f2a, v74
	v_mul_f32_e32 v75, 0xbf788fa5, v75
	s_delay_alu instid0(VALU_DEP_4) | instskip(NEXT) | instid1(VALU_DEP_4)
	v_dual_add_f32 v14, v111, v15 :: v_dual_add_f32 v17, v1, v50
	v_add_f32_e32 v50, v0, v13
	v_add_f32_e32 v18, v0, v18
	s_delay_alu instid0(VALU_DEP_4) | instskip(SKIP_3) | instid1(VALU_DEP_4)
	v_fmamk_f32 v15, v44, 0x3e750f2a, v75
	v_fmac_f32_e32 v84, 0xbf7e222b, v25
	v_dual_fmac_f32 v57, 0x3e750f2a, v25 :: v_dual_fmac_f32 v88, 0x3e750f2a, v39
	v_fmac_f32_e32 v101, 0xbf6f5d39, v37
	v_add_f32_e32 v13, v15, v12
	v_fmamk_f32 v12, v47, 0xbf788fa5, v60
	v_add_f32_e32 v15, v51, v17
	v_add_f32_e32 v17, v61, v50
	v_fma_f32 v50, 0xbf3f9e67, v43, -v64
	s_delay_alu instid0(VALU_DEP_4) | instskip(NEXT) | instid1(VALU_DEP_4)
	v_dual_fmac_f32 v107, 0x3f7e222b, v39 :: v_dual_add_f32 v12, v12, v14
	v_add_f32_e32 v14, v48, v15
	v_add_f32_e32 v48, v1, v69
	s_delay_alu instid0(VALU_DEP_4) | instskip(SKIP_4) | instid1(VALU_DEP_4)
	v_add_f32_e32 v15, v50, v17
	v_fma_f32 v17, 0x3f116cb1, v45, -v59
	v_fma_f32 v50, 0xbf3f9e67, v41, -v63
	v_add_f32_e32 v14, v49, v14
	v_fma_f32 v49, 0x3df6dbef, v47, -v65
	v_dual_fmac_f32 v66, 0xbf6f5d39, v25 :: v_dual_add_f32 v15, v17, v15
	v_fma_f32 v17, 0xbeb58ec6, v46, -v62
	v_add_f32_e32 v48, v70, v48
	v_add_f32_e32 v14, v52, v14
	v_fmac_f32_e32 v20, 0xbf7e222b, v40
	s_delay_alu instid0(VALU_DEP_4) | instskip(NEXT) | instid1(VALU_DEP_4)
	v_dual_fmac_f32 v68, 0xbf7e222b, v38 :: v_dual_add_f32 v17, v17, v15
	v_add_f32_e32 v48, v72, v48
	s_delay_alu instid0(VALU_DEP_3) | instskip(NEXT) | instid1(VALU_DEP_3)
	v_dual_add_f32 v15, v56, v14 :: v_dual_add_f32 v20, v1, v20
	v_add_f32_e32 v14, v49, v17
	s_delay_alu instid0(VALU_DEP_3) | instskip(SKIP_2) | instid1(VALU_DEP_2)
	v_dual_add_f32 v17, v57, v48 :: v_dual_add_f32 v48, v0, v50
	v_fma_f32 v49, 0x3df6dbef, v42, -v55
	v_add_f32_e32 v50, v1, v83
	v_add_f32_e32 v48, v49, v48
	v_fma_f32 v49, 0x3f116cb1, v43, -v54
	s_delay_alu instid0(VALU_DEP_1) | instskip(SKIP_1) | instid1(VALU_DEP_1)
	v_add_f32_e32 v48, v49, v48
	v_fma_f32 v49, 0xbf788fa5, v45, -v53
	v_add_f32_e32 v48, v49, v48
	v_fma_f32 v49, 0x3f62ad3f, v43, -v82
	s_delay_alu instid0(VALU_DEP_2) | instskip(SKIP_2) | instid1(VALU_DEP_3)
	v_dual_add_f32 v21, v21, v48 :: v_dual_add_f32 v22, v22, v50
	v_fma_f32 v50, 0xbf3f9e67, v42, -v85
	v_fma_f32 v48, 0xbeb58ec6, v47, -v86
	v_add_f32_e32 v22, v87, v22
	s_delay_alu instid0(VALU_DEP_3) | instskip(NEXT) | instid1(VALU_DEP_2)
	v_add_f32_e32 v18, v50, v18
	v_add_f32_e32 v22, v84, v22
	s_delay_alu instid0(VALU_DEP_2) | instskip(NEXT) | instid1(VALU_DEP_2)
	v_add_f32_e32 v18, v49, v18
	v_dual_add_f32 v22, v88, v22 :: v_dual_add_f32 v17, v58, v17
	s_delay_alu instid0(VALU_DEP_1) | instskip(SKIP_2) | instid1(VALU_DEP_1)
	v_add_f32_e32 v19, v19, v22
	v_fma_f32 v22, 0xbf788fa5, v42, -v34
	v_fmac_f32_e32 v98, 0xbf52af12, v40
	v_dual_fmac_f32 v23, 0xbf6f5d39, v44 :: v_dual_add_f32 v34, v1, v98
	s_delay_alu instid0(VALU_DEP_1) | instskip(SKIP_1) | instid1(VALU_DEP_3)
	v_add_f32_e32 v17, v23, v17
	v_fma_f32 v23, 0x3df6dbef, v45, -v89
	v_dual_fmac_f32 v93, 0x3eedf032, v25 :: v_dual_add_f32 v34, v101, v34
	v_fmac_f32_e32 v91, 0x3f6f5d39, v38
	s_delay_alu instid0(VALU_DEP_3)
	v_add_f32_e32 v18, v23, v18
	v_fma_f32 v23, 0xbf788fa5, v46, -v16
	v_add_f32_e32 v16, v48, v21
	v_fma_f32 v21, 0x3df6dbef, v41, -v90
	v_fmac_f32_e32 v81, 0xbe750f2a, v37
	v_mad_u32_u24 v38, 0x60, v24, v36
	v_add_f32_e32 v18, v23, v18
	v_fma_f32 v23, 0x3f116cb1, v47, -v35
	s_delay_alu instid0(VALU_DEP_4) | instskip(SKIP_3) | instid1(VALU_DEP_4)
	v_dual_add_f32 v21, v0, v21 :: v_dual_add_f32 v20, v81, v20
	v_fma_f32 v35, 0xbf3f9e67, v47, -v99
	v_fmac_f32_e32 v105, 0x3f29c268, v25
	v_fmac_f32_e32 v95, 0xbf52af12, v39
	v_add_f32_e32 v21, v22, v21
	v_fma_f32 v22, 0xbeb58ec6, v43, -v92
	v_add_f32_e32 v20, v91, v20
	v_add_f32_e32 v18, v23, v18
	v_fma_f32 v25, 0xbeb58ec6, v45, -v79
	s_delay_alu instid0(VALU_DEP_3) | instskip(SKIP_1) | instid1(VALU_DEP_1)
	v_dual_add_f32 v20, v93, v20 :: v_dual_add_f32 v21, v22, v21
	v_fma_f32 v22, 0x3f62ad3f, v45, -v94
	v_dual_add_f32 v20, v95, v20 :: v_dual_add_f32 v21, v22, v21
	v_fma_f32 v22, 0x3f116cb1, v46, -v96
	s_delay_alu instid0(VALU_DEP_1) | instskip(NEXT) | instid1(VALU_DEP_3)
	v_add_f32_e32 v22, v22, v21
	v_dual_add_f32 v34, v103, v34 :: v_dual_add_f32 v21, v97, v20
	s_delay_alu instid0(VALU_DEP_2) | instskip(NEXT) | instid1(VALU_DEP_2)
	v_add_f32_e32 v20, v35, v22
	v_add_f32_e32 v34, v105, v34
	v_fma_f32 v22, 0x3f116cb1, v41, -v100
	v_fma_f32 v35, 0xbeb58ec6, v42, -v102
	s_delay_alu instid0(VALU_DEP_3) | instskip(SKIP_1) | instid1(VALU_DEP_4)
	v_add_f32_e32 v23, v107, v34
	v_fma_f32 v34, 0x3f62ad3f, v41, -v76
	v_add_f32_e32 v22, v0, v22
	s_delay_alu instid0(VALU_DEP_2) | instskip(SKIP_1) | instid1(VALU_DEP_3)
	v_add_f32_e32 v0, v0, v34
	v_fma_f32 v34, 0x3f116cb1, v42, -v77
	v_add_f32_e32 v22, v35, v22
	v_fma_f32 v35, 0xbf788fa5, v43, -v104
	v_fmac_f32_e32 v73, 0xbeedf032, v40
	s_delay_alu instid0(VALU_DEP_4) | instskip(SKIP_1) | instid1(VALU_DEP_3)
	v_add_f32_e32 v0, v34, v0
	v_fma_f32 v34, 0x3df6dbef, v43, -v78
	v_dual_add_f32 v22, v35, v22 :: v_dual_add_f32 v1, v1, v73
	v_fmac_f32_e32 v71, 0xbf52af12, v37
	v_fma_f32 v35, 0xbf3f9e67, v45, -v106
	s_delay_alu instid0(VALU_DEP_4)
	v_add_f32_e32 v0, v34, v0
	v_fmac_f32_e32 v109, 0x3eedf032, v44
	v_fma_f32 v34, 0x3df6dbef, v46, -v108
	v_add_f32_e32 v1, v71, v1
	v_add_f32_e32 v22, v35, v22
	;; [unrolled: 1-line block ×3, first 2 shown]
	v_fma_f32 v25, 0xbf3f9e67, v46, -v80
	v_fma_f32 v37, 0xbf788fa5, v47, -v60
	s_delay_alu instid0(VALU_DEP_4) | instskip(SKIP_3) | instid1(VALU_DEP_4)
	v_dual_add_f32 v1, v68, v1 :: v_dual_add_f32 v22, v34, v22
	v_fma_f32 v34, 0x3f62ad3f, v47, -v110
	v_fmac_f32_e32 v67, 0xbf29c268, v39
	v_add_f32_e32 v25, v25, v0
	v_add_f32_e32 v1, v66, v1
	s_delay_alu instid0(VALU_DEP_4) | instskip(NEXT) | instid1(VALU_DEP_3)
	v_dual_fmac_f32 v75, 0xbe750f2a, v44 :: v_dual_add_f32 v0, v34, v22
	v_add_f32_e32 v22, v37, v25
	s_delay_alu instid0(VALU_DEP_3) | instskip(SKIP_1) | instid1(VALU_DEP_2)
	v_add_f32_e32 v35, v67, v1
	v_add_f32_e32 v1, v109, v23
	;; [unrolled: 1-line block ×3, first 2 shown]
	ds_store_2addr_b64 v38, v[4:5], v[12:13] offset1:1
	ds_store_2addr_b64 v38, v[10:11], v[8:9] offset0:2 offset1:3
	ds_store_2addr_b64 v38, v[6:7], v[2:3] offset0:4 offset1:5
	;; [unrolled: 1-line block ×5, first 2 shown]
	ds_store_b64 v38, v[22:23] offset:96
.LBB0_19:
	s_wait_alu 0xfffe
	s_or_b32 exec_lo, exec_lo, s1
	v_and_b32_e32 v0, 0xff, v24
	v_add_nc_u32_e32 v23, 0xd0, v24
	global_wb scope:SCOPE_SE
	s_wait_dscnt 0x0
	s_barrier_signal -1
	s_barrier_wait -1
	v_mul_lo_u16 v25, 0x4f, v0
	v_and_b32_e32 v0, 0xffff, v23
	global_inv scope:SCOPE_SE
	v_add_nc_u32_e32 v4, 0x270, v24
	v_lshrrev_b16 v39, 10, v25
	v_mul_u32_u24_e32 v40, 0x4ec5, v0
	v_lshrrev_b16 v50, 11, v25
	s_delay_alu instid0(VALU_DEP_4)
	v_and_b32_e32 v2, 0xffff, v4
	v_lshrrev_b16 v25, 12, v25
	v_mul_lo_u16 v0, v39, 13
	v_lshrrev_b32_e32 v43, 18, v40
	v_lshrrev_b32_e32 v52, 19, v40
	v_mul_u32_u24_e32 v42, 0x4ec5, v2
	v_mul_lo_u16 v51, v50, 26
	v_sub_nc_u16 v0, v24, v0
	s_delay_alu instid0(VALU_DEP_4) | instskip(NEXT) | instid1(VALU_DEP_4)
	v_mul_lo_u16 v55, v52, 26
	v_lshrrev_b32_e32 v45, 18, v42
	v_lshrrev_b32_e32 v54, 19, v42
	s_delay_alu instid0(VALU_DEP_4)
	v_and_b32_e32 v0, 0xff, v0
	v_sub_nc_u16 v51, v24, v51
	v_sub_nc_u16 v55, v23, v55
	v_mul_lo_u16 v5, v45, 13
	v_mul_lo_u16 v57, v54, 26
	v_lshlrev_b32_e32 v46, 3, v0
	v_mul_u32_u24_e32 v45, 0xd0, v45
	s_delay_alu instid0(VALU_DEP_4) | instskip(SKIP_3) | instid1(VALU_DEP_2)
	v_sub_nc_u16 v0, v4, v5
	global_load_b64 v[21:22], v46, s[4:5]
	v_add_nc_u32_e32 v3, 0x1a0, v24
	v_and_b32_e32 v0, 0xffff, v0
	v_and_b32_e32 v1, 0xffff, v3
	s_delay_alu instid0(VALU_DEP_2) | instskip(SKIP_1) | instid1(VALU_DEP_3)
	v_lshlrev_b32_e32 v49, 3, v0
	v_add_nc_u32_e32 v0, 0xc00, v36
	v_mul_u32_u24_e32 v41, 0x4ec5, v1
	v_mul_lo_u16 v1, v43, 13
	v_mul_u32_u24_e32 v43, 0xd0, v43
	s_delay_alu instid0(VALU_DEP_3) | instskip(NEXT) | instid1(VALU_DEP_3)
	v_lshrrev_b32_e32 v44, 18, v41
	v_sub_nc_u16 v1, v23, v1
	v_lshrrev_b32_e32 v53, 19, v41
	s_delay_alu instid0(VALU_DEP_3) | instskip(NEXT) | instid1(VALU_DEP_3)
	v_mul_lo_u16 v2, v44, 13
	v_and_b32_e32 v1, 0xffff, v1
	s_delay_alu instid0(VALU_DEP_3) | instskip(SKIP_1) | instid1(VALU_DEP_4)
	v_mul_lo_u16 v56, v53, 26
	v_mul_u32_u24_e32 v44, 0xd0, v44
	v_sub_nc_u16 v2, v3, v2
	s_delay_alu instid0(VALU_DEP_4) | instskip(NEXT) | instid1(VALU_DEP_4)
	v_lshlrev_b32_e32 v47, 3, v1
	v_sub_nc_u16 v56, v3, v56
	s_delay_alu instid0(VALU_DEP_3) | instskip(NEXT) | instid1(VALU_DEP_2)
	v_and_b32_e32 v2, 0xffff, v2
	v_and_b32_e32 v56, 0xffff, v56
	s_delay_alu instid0(VALU_DEP_2)
	v_lshlrev_b32_e32 v48, 3, v2
	v_add_nc_u32_e32 v2, 0x1a00, v36
	s_clause 0x2
	global_load_b64 v[32:33], v47, s[4:5]
	global_load_b64 v[34:35], v48, s[4:5]
	;; [unrolled: 1-line block ×3, first 2 shown]
	ds_load_2addr_b64 v[5:8], v36 offset1:208
	v_add_nc_u32_e32 v1, 0x2600, v36
	ds_load_2addr_b64 v[9:12], v2 offset1:208
	ds_load_2addr_b64 v[13:16], v0 offset0:32 offset1:240
	ds_load_2addr_b64 v[17:20], v1 offset0:32 offset1:240
	v_and_b32_e32 v39, 0xffff, v39
	v_and_b32_e32 v55, 0xffff, v55
	global_wb scope:SCOPE_SE
	s_wait_loadcnt_dscnt 0x0
	s_barrier_signal -1
	s_barrier_wait -1
	v_mul_u32_u24_e32 v39, 0xd0, v39
	global_inv scope:SCOPE_SE
	v_add3_u32 v39, 0, v39, v46
	v_lshlrev_b32_e32 v46, 3, v55
	v_dual_mul_f32 v56, v22, v10 :: v_dual_lshlrev_b32 v55, 3, v56
	v_mul_f32_e32 v22, v22, v9
	s_delay_alu instid0(VALU_DEP_2) | instskip(NEXT) | instid1(VALU_DEP_2)
	v_fmac_f32_e32 v56, v21, v9
	v_fma_f32 v10, v21, v10, -v22
	s_delay_alu instid0(VALU_DEP_1) | instskip(NEXT) | instid1(VALU_DEP_1)
	v_sub_f32_e32 v10, v6, v10
	v_fma_f32 v6, v6, 2.0, -v10
	v_mul_f32_e32 v21, v33, v12
	v_dual_mul_f32 v9, v33, v11 :: v_dual_mul_f32 v22, v35, v18
	v_mul_f32_e32 v33, v35, v17
	v_mul_f32_e32 v35, v38, v20
	;; [unrolled: 1-line block ×3, first 2 shown]
	v_fmac_f32_e32 v21, v32, v11
	v_fma_f32 v12, v32, v12, -v9
	v_fmac_f32_e32 v22, v34, v17
	v_fma_f32 v18, v34, v18, -v33
	;; [unrolled: 2-line block ×3, first 2 shown]
	v_sub_nc_u16 v57, v4, v57
	v_sub_f32_e32 v9, v5, v56
	v_dual_sub_f32 v11, v7, v21 :: v_dual_sub_f32 v12, v8, v12
	v_dual_sub_f32 v18, v14, v18 :: v_dual_and_b32 v51, 0xff, v51
	v_sub_f32_e32 v17, v13, v22
	v_dual_sub_f32 v19, v15, v35 :: v_dual_sub_f32 v20, v16, v20
	v_and_b32_e32 v57, 0xffff, v57
	v_fma_f32 v5, v5, 2.0, -v9
	v_add3_u32 v43, 0, v43, v47
	v_fma_f32 v7, v7, 2.0, -v11
	v_fma_f32 v8, v8, 2.0, -v12
	v_add3_u32 v44, 0, v44, v48
	v_fma_f32 v13, v13, 2.0, -v17
	v_fma_f32 v14, v14, 2.0, -v18
	v_lshlrev_b32_e32 v51, 3, v51
	v_add3_u32 v45, 0, v45, v49
	v_fma_f32 v15, v15, 2.0, -v19
	v_fma_f32 v16, v16, 2.0, -v20
	ds_store_2addr_b64 v39, v[5:6], v[9:10] offset1:13
	ds_store_2addr_b64 v43, v[7:8], v[11:12] offset1:13
	;; [unrolled: 1-line block ×4, first 2 shown]
	v_lshlrev_b32_e32 v13, 3, v57
	global_wb scope:SCOPE_SE
	s_wait_dscnt 0x0
	s_barrier_signal -1
	s_barrier_wait -1
	global_inv scope:SCOPE_SE
	s_clause 0x3
	global_load_b64 v[21:22], v51, s[4:5] offset:104
	global_load_b64 v[32:33], v46, s[4:5] offset:104
	;; [unrolled: 1-line block ×4, first 2 shown]
	v_mul_lo_u16 v5, v25, 52
	v_lshrrev_b32_e32 v39, 20, v40
	v_and_b32_e32 v10, 0xffff, v50
	v_mul_u32_u24_e32 v16, 0x1a0, v52
	v_mul_u32_u24_e32 v18, 0x1a0, v54
	v_sub_nc_u16 v5, v24, v5
	v_mul_lo_u16 v9, v39, 52
	v_mul_u32_u24_e32 v15, 0x1a0, v10
	s_delay_alu instid0(VALU_DEP_3)
	v_and_b32_e32 v40, 0xff, v5
	ds_load_2addr_b64 v[5:8], v2 offset1:208
	v_sub_nc_u16 v14, v23, v9
	ds_load_2addr_b64 v[9:12], v1 offset0:32 offset1:240
	v_mul_u32_u24_e32 v17, 3, v40
	s_wait_loadcnt_dscnt 0x201
	v_dual_mul_f32 v50, v33, v8 :: v_dual_and_b32 v23, 0xffff, v14
	v_mul_u32_u24_e32 v14, 0x1a0, v53
	v_mul_f32_e32 v49, v22, v6
	v_mul_f32_e32 v22, v22, v5
	s_delay_alu instid0(VALU_DEP_4)
	v_fmac_f32_e32 v50, v32, v7
	v_add3_u32 v43, 0, v15, v51
	s_wait_loadcnt_dscnt 0x0
	v_dual_mul_f32 v51, v35, v10 :: v_dual_mul_f32 v52, v38, v12
	v_add3_u32 v46, 0, v16, v46
	v_add3_u32 v48, 0, v18, v13
	v_mul_f32_e32 v38, v38, v11
	v_add3_u32 v47, 0, v14, v55
	v_dual_fmac_f32 v51, v34, v9 :: v_dual_fmac_f32 v52, v37, v11
	v_lshlrev_b32_e32 v44, 3, v17
	ds_load_2addr_b64 v[13:16], v36 offset1:208
	ds_load_2addr_b64 v[17:20], v0 offset0:32 offset1:240
	v_mul_f32_e32 v33, v33, v7
	v_mul_f32_e32 v35, v35, v9
	v_fma_f32 v6, v21, v6, -v22
	v_fmac_f32_e32 v49, v21, v5
	v_fma_f32 v12, v37, v12, -v38
	v_fma_f32 v8, v32, v8, -v33
	;; [unrolled: 1-line block ×3, first 2 shown]
	v_mul_u32_u24_e32 v45, 3, v23
	global_wb scope:SCOPE_SE
	s_wait_dscnt 0x0
	s_barrier_signal -1
	s_barrier_wait -1
	global_inv scope:SCOPE_SE
	v_dual_sub_f32 v6, v14, v6 :: v_dual_sub_f32 v5, v13, v49
	v_dual_sub_f32 v8, v16, v8 :: v_dual_sub_f32 v7, v15, v50
	;; [unrolled: 1-line block ×3, first 2 shown]
	v_sub_f32_e32 v11, v19, v52
	v_sub_f32_e32 v12, v20, v12
	v_fma_f32 v13, v13, 2.0, -v5
	v_fma_f32 v14, v14, 2.0, -v6
	v_fma_f32 v15, v15, 2.0, -v7
	v_fma_f32 v16, v16, 2.0, -v8
	v_fma_f32 v17, v17, 2.0, -v9
	v_fma_f32 v18, v18, 2.0, -v10
	v_fma_f32 v19, v19, 2.0, -v11
	v_fma_f32 v20, v20, 2.0, -v12
	ds_store_2addr_b64 v43, v[13:14], v[5:6] offset1:26
	ds_store_2addr_b64 v46, v[15:16], v[7:8] offset1:26
	;; [unrolled: 1-line block ×4, first 2 shown]
	v_lshlrev_b32_e32 v13, 3, v45
	global_wb scope:SCOPE_SE
	s_wait_dscnt 0x0
	s_barrier_signal -1
	s_barrier_wait -1
	global_inv scope:SCOPE_SE
	s_clause 0x3
	global_load_b128 v[5:8], v44, s[4:5] offset:312
	global_load_b64 v[21:22], v44, s[4:5] offset:328
	global_load_b128 v[9:12], v13, s[4:5] offset:312
	global_load_b64 v[34:35], v13, s[4:5] offset:328
	v_lshrrev_b32_e32 v13, 22, v41
	v_lshrrev_b32_e32 v15, 22, v42
	v_mul_u32_u24_e32 v41, 0x680, v39
	v_add_co_u32 v39, s0, s4, v30
	s_delay_alu instid0(VALU_DEP_4) | instskip(NEXT) | instid1(VALU_DEP_4)
	v_mul_lo_u16 v17, 0xd0, v13
	v_mul_lo_u16 v33, 0xd0, v15
	s_delay_alu instid0(VALU_DEP_2) | instskip(NEXT) | instid1(VALU_DEP_2)
	v_sub_nc_u16 v37, v3, v17
	v_sub_nc_u16 v33, v4, v33
	ds_load_b64 v[3:4], v36 offset:9984
	v_and_b32_e32 v14, 0xffff, v25
	ds_load_2addr_b64 v[17:20], v2 offset1:208
	v_lshlrev_b32_e32 v23, 3, v23
	v_and_b32_e32 v43, 0xffff, v37
	s_wait_loadcnt_dscnt 0x200
	v_dual_mul_f32 v45, v22, v4 :: v_dual_mul_f32 v44, v8, v18
	v_mul_u32_u24_e32 v32, 0x680, v14
	ds_load_2addr_b64 v[13:16], v0 offset0:32 offset1:240
	v_add_nc_u32_e32 v25, 0x2c00, v36
	v_lshlrev_b32_e32 v42, 3, v40
	v_mul_f32_e32 v8, v8, v17
	v_add3_u32 v23, 0, v41, v23
	s_wait_alu 0xf1ff
	v_add_co_ci_u32_e64 v40, s0, s5, v31, s0
	v_mul_f32_e32 v22, v22, v3
	v_lshlrev_b32_e32 v43, 3, v43
	s_wait_loadcnt 0x1
	v_dual_mul_f32 v47, v12, v20 :: v_dual_fmac_f32 v44, v7, v17
	v_fmac_f32_e32 v45, v21, v3
	v_fma_f32 v3, v21, v4, -v22
	v_add_co_u32 v28, s0, s4, v28
	s_wait_alu 0xf1ff
	v_add_co_ci_u32_e64 v29, s0, s5, v29, s0
	s_wait_dscnt 0x0
	v_mul_f32_e32 v41, v6, v14
	v_mul_f32_e32 v6, v6, v13
	ds_load_2addr_b32 v[37:38], v25 offset0:96 offset1:97
	v_and_b32_e32 v25, 0xffff, v33
	v_add3_u32 v42, 0, v32, v42
	ds_load_2addr_b64 v[30:33], v36 offset1:208
	v_mul_f32_e32 v46, v10, v16
	v_mul_f32_e32 v10, v10, v15
	v_dual_mul_f32 v12, v12, v19 :: v_dual_fmac_f32 v41, v5, v13
	v_fma_f32 v5, v5, v14, -v6
	v_fma_f32 v6, v7, v18, -v8
	v_fmac_f32_e32 v46, v9, v15
	v_fma_f32 v7, v9, v16, -v10
	global_wb scope:SCOPE_SE
	s_wait_loadcnt_dscnt 0x0
	v_sub_f32_e32 v3, v5, v3
	s_barrier_signal -1
	s_barrier_wait -1
	global_inv scope:SCOPE_SE
	v_fma_f32 v17, v5, 2.0, -v3
	v_dual_mul_f32 v48, v38, v35 :: v_dual_mul_f32 v35, v35, v37
	v_fmac_f32_e32 v47, v11, v19
	v_fma_f32 v4, v11, v20, -v12
	v_sub_f32_e32 v10, v31, v6
	s_delay_alu instid0(VALU_DEP_4) | instskip(SKIP_3) | instid1(VALU_DEP_2)
	v_fmac_f32_e32 v48, v34, v37
	v_fma_f32 v8, v38, v34, -v35
	v_dual_sub_f32 v9, v30, v44 :: v_dual_sub_f32 v6, v41, v45
	v_dual_sub_f32 v13, v32, v47 :: v_dual_sub_f32 v14, v33, v4
	v_dual_sub_f32 v8, v7, v8 :: v_dual_add_f32 v3, v9, v3
	v_fma_f32 v16, v31, 2.0, -v10
	v_sub_f32_e32 v11, v46, v48
	v_fma_f32 v15, v30, 2.0, -v9
	v_fma_f32 v12, v41, 2.0, -v6
	v_dual_sub_f32 v4, v10, v6 :: v_dual_add_f32 v5, v13, v8
	v_fma_f32 v18, v32, 2.0, -v13
	v_fma_f32 v19, v33, 2.0, -v14
	;; [unrolled: 1-line block ×3, first 2 shown]
	v_sub_f32_e32 v8, v16, v17
	v_fma_f32 v20, v46, 2.0, -v11
	v_dual_sub_f32 v6, v14, v11 :: v_dual_sub_f32 v7, v15, v12
	s_delay_alu instid0(VALU_DEP_4) | instskip(SKIP_1) | instid1(VALU_DEP_4)
	v_sub_f32_e32 v12, v19, v21
	v_fma_f32 v9, v9, 2.0, -v3
	v_sub_f32_e32 v11, v18, v20
	v_fma_f32 v10, v10, 2.0, -v4
	v_fma_f32 v15, v15, 2.0, -v7
	;; [unrolled: 1-line block ×7, first 2 shown]
	ds_store_2addr_b64 v42, v[7:8], v[3:4] offset0:104 offset1:156
	ds_store_2addr_b64 v42, v[15:16], v[9:10] offset1:52
	ds_store_2addr_b64 v23, v[17:18], v[13:14] offset1:52
	ds_store_2addr_b64 v23, v[11:12], v[5:6] offset0:104 offset1:156
	v_lshlrev_b32_e32 v11, 3, v25
	global_wb scope:SCOPE_SE
	s_wait_dscnt 0x0
	s_barrier_signal -1
	s_barrier_wait -1
	global_inv scope:SCOPE_SE
	s_clause 0x2
	global_load_b64 v[19:20], v[39:40], off offset:1560
	global_load_b64 v[21:22], v43, s[4:5] offset:1560
	global_load_b64 v[30:31], v11, s[4:5] offset:1560
	ds_load_2addr_b64 v[3:6], v2 offset1:208
	ds_load_2addr_b64 v[7:10], v1 offset0:32 offset1:240
	v_add_nc_u32_e32 v12, 0, v43
	s_wait_loadcnt_dscnt 0x201
	v_dual_mul_f32 v32, v20, v4 :: v_dual_add_nc_u32 v11, 0, v11
	s_delay_alu instid0(VALU_DEP_1)
	v_add_nc_u32_e32 v25, 0x2600, v11
	s_wait_loadcnt_dscnt 0x100
	v_mul_f32_e32 v35, v22, v8
	v_dual_mul_f32 v34, v20, v6 :: v_dual_add_nc_u32 v23, 0x1a00, v12
	ds_load_2addr_b64 v[11:14], v36 offset1:208
	ds_load_2addr_b64 v[15:18], v0 offset0:32 offset1:240
	v_mul_f32_e32 v33, v20, v3
	v_mul_f32_e32 v20, v20, v5
	s_wait_loadcnt 0x0
	v_dual_mul_f32 v22, v22, v7 :: v_dual_mul_f32 v37, v31, v10
	v_fmac_f32_e32 v34, v19, v5
	v_fma_f32 v4, v19, v4, -v33
	v_mul_f32_e32 v31, v31, v9
	s_delay_alu instid0(VALU_DEP_4)
	v_dual_fmac_f32 v32, v19, v3 :: v_dual_fmac_f32 v37, v30, v9
	v_fma_f32 v6, v19, v6, -v20
	v_fmac_f32_e32 v35, v21, v7
	v_fma_f32 v8, v21, v8, -v22
	global_wb scope:SCOPE_SE
	s_wait_dscnt 0x0
	s_barrier_signal -1
	s_barrier_wait -1
	global_inv scope:SCOPE_SE
	v_sub_f32_e32 v6, v14, v6
	v_sub_f32_e32 v4, v12, v4
	v_fma_f32 v10, v30, v10, -v31
	v_sub_f32_e32 v3, v11, v32
	v_dual_sub_f32 v5, v13, v34 :: v_dual_sub_f32 v8, v16, v8
	v_sub_f32_e32 v7, v15, v35
	s_delay_alu instid0(VALU_DEP_4) | instskip(NEXT) | instid1(VALU_DEP_4)
	v_dual_sub_f32 v9, v17, v37 :: v_dual_sub_f32 v10, v18, v10
	v_fma_f32 v11, v11, 2.0, -v3
	v_fma_f32 v12, v12, 2.0, -v4
	;; [unrolled: 1-line block ×8, first 2 shown]
	ds_store_2addr_b64 v36, v[11:12], v[3:4] offset1:208
	ds_store_2addr_b64 v0, v[13:14], v[5:6] offset0:32 offset1:240
	ds_store_2addr_b64 v23, v[15:16], v[7:8] offset1:208
	ds_store_2addr_b64 v25, v[17:18], v[9:10] offset0:32 offset1:240
	global_wb scope:SCOPE_SE
	s_wait_dscnt 0x0
	s_barrier_signal -1
	s_barrier_wait -1
	global_inv scope:SCOPE_SE
	s_clause 0x1
	global_load_b64 v[19:20], v[39:40], off offset:3224
	global_load_b64 v[21:22], v[28:29], off offset:4888
	ds_load_2addr_b64 v[3:6], v2 offset1:208
	ds_load_2addr_b64 v[7:10], v1 offset0:32 offset1:240
	ds_load_2addr_b64 v[11:14], v36 offset1:208
	ds_load_2addr_b64 v[15:18], v0 offset0:32 offset1:240
	global_wb scope:SCOPE_SE
	s_wait_loadcnt_dscnt 0x0
	s_barrier_signal -1
	s_barrier_wait -1
	global_inv scope:SCOPE_SE
	v_mul_f32_e32 v32, v20, v8
	v_dual_mul_f32 v23, v20, v4 :: v_dual_mul_f32 v30, v22, v6
	v_mul_f32_e32 v25, v20, v3
	v_dual_mul_f32 v31, v22, v5 :: v_dual_mul_f32 v20, v20, v7
	s_delay_alu instid0(VALU_DEP_4)
	v_dual_mul_f32 v33, v22, v10 :: v_dual_fmac_f32 v32, v19, v7
	v_mul_f32_e32 v22, v22, v9
	v_fmac_f32_e32 v30, v21, v5
	v_fma_f32 v4, v19, v4, -v25
	v_fmac_f32_e32 v23, v19, v3
	v_fma_f32 v6, v21, v6, -v31
	v_fma_f32 v8, v19, v8, -v20
	v_fmac_f32_e32 v33, v21, v9
	v_fma_f32 v10, v21, v10, -v22
	v_sub_f32_e32 v4, v12, v4
	v_dual_sub_f32 v6, v14, v6 :: v_dual_sub_f32 v3, v11, v23
	v_dual_sub_f32 v8, v16, v8 :: v_dual_sub_f32 v5, v13, v30
	s_delay_alu instid0(VALU_DEP_4) | instskip(SKIP_1) | instid1(VALU_DEP_4)
	v_dual_sub_f32 v7, v15, v32 :: v_dual_sub_f32 v10, v18, v10
	v_sub_f32_e32 v9, v17, v33
	v_fma_f32 v11, v11, 2.0, -v3
	v_fma_f32 v12, v12, 2.0, -v4
	v_fma_f32 v13, v13, 2.0, -v5
	v_fma_f32 v14, v14, 2.0, -v6
	v_fma_f32 v15, v15, 2.0, -v7
	v_fma_f32 v16, v16, 2.0, -v8
	v_fma_f32 v17, v17, 2.0, -v9
	v_fma_f32 v18, v18, 2.0, -v10
	ds_store_2addr_b64 v0, v[3:4], v[5:6] offset0:32 offset1:240
	ds_store_2addr_b64 v1, v[7:8], v[9:10] offset0:32 offset1:240
	ds_store_2addr_b64 v36, v[11:12], v[13:14] offset1:208
	ds_store_2addr_b64 v2, v[15:16], v[17:18] offset1:208
	global_wb scope:SCOPE_SE
	s_wait_dscnt 0x0
	s_barrier_signal -1
	s_barrier_wait -1
	global_inv scope:SCOPE_SE
	s_clause 0x3
	global_load_b64 v[19:20], v[39:40], off offset:6552
	global_load_b64 v[21:22], v[28:29], off offset:8216
	;; [unrolled: 1-line block ×4, first 2 shown]
	ds_load_2addr_b64 v[3:6], v2 offset1:208
	ds_load_2addr_b64 v[7:10], v1 offset0:32 offset1:240
	ds_load_2addr_b64 v[11:14], v36 offset1:208
	ds_load_2addr_b64 v[15:18], v0 offset0:32 offset1:240
	global_wb scope:SCOPE_SE
	s_wait_loadcnt_dscnt 0x0
	s_barrier_signal -1
	s_barrier_wait -1
	global_inv scope:SCOPE_SE
	v_mul_f32_e32 v23, v20, v4
	v_mul_f32_e32 v20, v20, v3
	v_dual_mul_f32 v32, v31, v8 :: v_dual_mul_f32 v33, v29, v10
	s_delay_alu instid0(VALU_DEP_2) | instskip(NEXT) | instid1(VALU_DEP_2)
	v_fma_f32 v4, v19, v4, -v20
	v_fmac_f32_e32 v32, v30, v7
	v_mul_f32_e32 v25, v22, v6
	v_mul_f32_e32 v22, v22, v5
	v_fmac_f32_e32 v33, v28, v9
	s_delay_alu instid0(VALU_DEP_3) | instskip(NEXT) | instid1(VALU_DEP_3)
	v_dual_sub_f32 v4, v12, v4 :: v_dual_fmac_f32 v25, v21, v5
	v_fma_f32 v6, v21, v6, -v22
	v_mul_f32_e32 v31, v31, v7
	v_sub_f32_e32 v7, v15, v32
	s_delay_alu instid0(VALU_DEP_4) | instskip(NEXT) | instid1(VALU_DEP_4)
	v_fma_f32 v12, v12, 2.0, -v4
	v_dual_sub_f32 v5, v13, v25 :: v_dual_sub_f32 v6, v14, v6
	s_delay_alu instid0(VALU_DEP_4) | instskip(SKIP_2) | instid1(VALU_DEP_4)
	v_fma_f32 v8, v30, v8, -v31
	v_mul_f32_e32 v29, v29, v9
	v_sub_f32_e32 v9, v17, v33
	v_fma_f32 v13, v13, 2.0, -v5
	v_fma_f32 v14, v14, 2.0, -v6
	v_sub_f32_e32 v8, v16, v8
	v_fma_f32 v10, v28, v10, -v29
	v_fmac_f32_e32 v23, v19, v3
	v_fma_f32 v15, v15, 2.0, -v7
	v_fma_f32 v17, v17, 2.0, -v9
	;; [unrolled: 1-line block ×3, first 2 shown]
	s_delay_alu instid0(VALU_DEP_4) | instskip(NEXT) | instid1(VALU_DEP_1)
	v_dual_sub_f32 v10, v18, v10 :: v_dual_sub_f32 v3, v11, v23
	v_fma_f32 v18, v18, 2.0, -v10
	s_delay_alu instid0(VALU_DEP_2)
	v_fma_f32 v11, v11, 2.0, -v3
	ds_store_2addr_b64 v2, v[3:4], v[5:6] offset1:208
	ds_store_2addr_b64 v1, v[7:8], v[9:10] offset0:32 offset1:240
	ds_store_2addr_b64 v36, v[11:12], v[13:14] offset1:208
	ds_store_2addr_b64 v0, v[15:16], v[17:18] offset0:32 offset1:240
	global_wb scope:SCOPE_SE
	s_wait_dscnt 0x0
	s_barrier_signal -1
	s_barrier_wait -1
	global_inv scope:SCOPE_SE
	s_and_saveexec_b32 s0, vcc_lo
	s_cbranch_execz .LBB0_21
; %bb.20:
	v_dual_mov_b32 v25, 0 :: v_dual_add_nc_u32 v4, 0xd0, v24
	v_lshl_add_u32 v30, v24, 3, 0
	v_add_co_u32 v32, vcc_lo, s8, v26
	s_delay_alu instid0(VALU_DEP_3)
	v_dual_mov_b32 v5, v25 :: v_dual_add_nc_u32 v8, 0x1a0, v24
	v_lshlrev_b64_e32 v[6:7], 3, v[24:25]
	v_mov_b32_e32 v9, v25
	s_wait_alu 0xfffd
	v_add_co_ci_u32_e32 v33, vcc_lo, s9, v27, vcc_lo
	v_lshlrev_b64_e32 v[4:5], 3, v[4:5]
	v_dual_mov_b32 v11, v25 :: v_dual_add_nc_u32 v10, 0x270, v24
	v_add_co_u32 v16, vcc_lo, v32, v6
	v_add_nc_u32_e32 v6, 0xc00, v30
	v_lshlrev_b64_e32 v[8:9], 3, v[8:9]
	s_wait_alu 0xfffd
	v_add_co_ci_u32_e32 v17, vcc_lo, v33, v7, vcc_lo
	v_add_co_u32 v18, vcc_lo, v32, v4
	s_wait_alu 0xfffd
	v_add_co_ci_u32_e32 v19, vcc_lo, v33, v5, vcc_lo
	v_add_co_u32 v20, vcc_lo, v32, v8
	v_dual_mov_b32 v13, v25 :: v_dual_add_nc_u32 v12, 0x340, v24
	s_wait_alu 0xfffd
	v_add_co_ci_u32_e32 v21, vcc_lo, v33, v9, vcc_lo
	v_lshlrev_b64_e32 v[8:9], 3, v[10:11]
	v_dual_mov_b32 v15, v25 :: v_dual_add_nc_u32 v10, 0x1a00, v30
	v_dual_mov_b32 v29, v25 :: v_dual_add_nc_u32 v14, 0x410, v24
	v_lshlrev_b64_e32 v[12:13], 3, v[12:13]
	ds_load_2addr_b64 v[0:3], v30 offset1:208
	v_add_co_u32 v22, vcc_lo, v32, v8
	v_lshlrev_b64_e32 v[26:27], 3, v[14:15]
	v_add_nc_u32_e32 v14, 0x2600, v30
	ds_load_2addr_b64 v[4:7], v6 offset0:32 offset1:240
	s_wait_alu 0xfffd
	v_add_co_ci_u32_e32 v23, vcc_lo, v33, v9, vcc_lo
	ds_load_2addr_b64 v[8:11], v10 offset1:208
	v_add_nc_u32_e32 v28, 0x4e0, v24
	v_add_co_u32 v30, vcc_lo, v32, v12
	s_wait_alu 0xfffd
	v_add_co_ci_u32_e32 v31, vcc_lo, v33, v13, vcc_lo
	ds_load_2addr_b64 v[12:15], v14 offset0:32 offset1:240
	v_add_nc_u32_e32 v24, 0x5b0, v24
	v_lshlrev_b64_e32 v[28:29], 3, v[28:29]
	v_add_co_u32 v26, vcc_lo, v32, v26
	s_wait_alu 0xfffd
	v_add_co_ci_u32_e32 v27, vcc_lo, v33, v27, vcc_lo
	v_lshlrev_b64_e32 v[24:25], 3, v[24:25]
	s_delay_alu instid0(VALU_DEP_4) | instskip(SKIP_2) | instid1(VALU_DEP_3)
	v_add_co_u32 v28, vcc_lo, v32, v28
	s_wait_alu 0xfffd
	v_add_co_ci_u32_e32 v29, vcc_lo, v33, v29, vcc_lo
	v_add_co_u32 v24, vcc_lo, v32, v24
	s_wait_alu 0xfffd
	v_add_co_ci_u32_e32 v25, vcc_lo, v33, v25, vcc_lo
	s_wait_dscnt 0x3
	s_clause 0x1
	global_store_b64 v[16:17], v[0:1], off
	global_store_b64 v[18:19], v[2:3], off
	s_wait_dscnt 0x2
	s_clause 0x1
	global_store_b64 v[20:21], v[4:5], off
	global_store_b64 v[22:23], v[6:7], off
	;; [unrolled: 4-line block ×4, first 2 shown]
.LBB0_21:
	s_nop 0
	s_sendmsg sendmsg(MSG_DEALLOC_VGPRS)
	s_endpgm
	.section	.rodata,"a",@progbits
	.p2align	6, 0x0
	.amdhsa_kernel fft_rtc_back_len1664_factors_13_2_2_4_2_2_2_wgs_208_tpt_208_halfLds_sp_ip_CI_unitstride_sbrr_C2R_dirReg
		.amdhsa_group_segment_fixed_size 0
		.amdhsa_private_segment_fixed_size 0
		.amdhsa_kernarg_size 88
		.amdhsa_user_sgpr_count 2
		.amdhsa_user_sgpr_dispatch_ptr 0
		.amdhsa_user_sgpr_queue_ptr 0
		.amdhsa_user_sgpr_kernarg_segment_ptr 1
		.amdhsa_user_sgpr_dispatch_id 0
		.amdhsa_user_sgpr_private_segment_size 0
		.amdhsa_wavefront_size32 1
		.amdhsa_uses_dynamic_stack 0
		.amdhsa_enable_private_segment 0
		.amdhsa_system_sgpr_workgroup_id_x 1
		.amdhsa_system_sgpr_workgroup_id_y 0
		.amdhsa_system_sgpr_workgroup_id_z 0
		.amdhsa_system_sgpr_workgroup_info 0
		.amdhsa_system_vgpr_workitem_id 0
		.amdhsa_next_free_vgpr 112
		.amdhsa_next_free_sgpr 32
		.amdhsa_reserve_vcc 1
		.amdhsa_float_round_mode_32 0
		.amdhsa_float_round_mode_16_64 0
		.amdhsa_float_denorm_mode_32 3
		.amdhsa_float_denorm_mode_16_64 3
		.amdhsa_fp16_overflow 0
		.amdhsa_workgroup_processor_mode 1
		.amdhsa_memory_ordered 1
		.amdhsa_forward_progress 0
		.amdhsa_round_robin_scheduling 0
		.amdhsa_exception_fp_ieee_invalid_op 0
		.amdhsa_exception_fp_denorm_src 0
		.amdhsa_exception_fp_ieee_div_zero 0
		.amdhsa_exception_fp_ieee_overflow 0
		.amdhsa_exception_fp_ieee_underflow 0
		.amdhsa_exception_fp_ieee_inexact 0
		.amdhsa_exception_int_div_zero 0
	.end_amdhsa_kernel
	.text
.Lfunc_end0:
	.size	fft_rtc_back_len1664_factors_13_2_2_4_2_2_2_wgs_208_tpt_208_halfLds_sp_ip_CI_unitstride_sbrr_C2R_dirReg, .Lfunc_end0-fft_rtc_back_len1664_factors_13_2_2_4_2_2_2_wgs_208_tpt_208_halfLds_sp_ip_CI_unitstride_sbrr_C2R_dirReg
                                        ; -- End function
	.section	.AMDGPU.csdata,"",@progbits
; Kernel info:
; codeLenInByte = 9260
; NumSgprs: 34
; NumVgprs: 112
; ScratchSize: 0
; MemoryBound: 0
; FloatMode: 240
; IeeeMode: 1
; LDSByteSize: 0 bytes/workgroup (compile time only)
; SGPRBlocks: 4
; VGPRBlocks: 13
; NumSGPRsForWavesPerEU: 34
; NumVGPRsForWavesPerEU: 112
; Occupancy: 12
; WaveLimiterHint : 1
; COMPUTE_PGM_RSRC2:SCRATCH_EN: 0
; COMPUTE_PGM_RSRC2:USER_SGPR: 2
; COMPUTE_PGM_RSRC2:TRAP_HANDLER: 0
; COMPUTE_PGM_RSRC2:TGID_X_EN: 1
; COMPUTE_PGM_RSRC2:TGID_Y_EN: 0
; COMPUTE_PGM_RSRC2:TGID_Z_EN: 0
; COMPUTE_PGM_RSRC2:TIDIG_COMP_CNT: 0
	.text
	.p2alignl 7, 3214868480
	.fill 96, 4, 3214868480
	.type	__hip_cuid_caa20fa6a32cb044,@object ; @__hip_cuid_caa20fa6a32cb044
	.section	.bss,"aw",@nobits
	.globl	__hip_cuid_caa20fa6a32cb044
__hip_cuid_caa20fa6a32cb044:
	.byte	0                               ; 0x0
	.size	__hip_cuid_caa20fa6a32cb044, 1

	.ident	"AMD clang version 19.0.0git (https://github.com/RadeonOpenCompute/llvm-project roc-6.4.0 25133 c7fe45cf4b819c5991fe208aaa96edf142730f1d)"
	.section	".note.GNU-stack","",@progbits
	.addrsig
	.addrsig_sym __hip_cuid_caa20fa6a32cb044
	.amdgpu_metadata
---
amdhsa.kernels:
  - .args:
      - .actual_access:  read_only
        .address_space:  global
        .offset:         0
        .size:           8
        .value_kind:     global_buffer
      - .offset:         8
        .size:           8
        .value_kind:     by_value
      - .actual_access:  read_only
        .address_space:  global
        .offset:         16
        .size:           8
        .value_kind:     global_buffer
      - .actual_access:  read_only
        .address_space:  global
        .offset:         24
        .size:           8
        .value_kind:     global_buffer
      - .offset:         32
        .size:           8
        .value_kind:     by_value
      - .actual_access:  read_only
        .address_space:  global
        .offset:         40
        .size:           8
        .value_kind:     global_buffer
      - .actual_access:  read_only
        .address_space:  global
        .offset:         48
        .size:           8
        .value_kind:     global_buffer
      - .offset:         56
        .size:           4
        .value_kind:     by_value
      - .actual_access:  read_only
        .address_space:  global
        .offset:         64
        .size:           8
        .value_kind:     global_buffer
      - .actual_access:  read_only
        .address_space:  global
        .offset:         72
        .size:           8
        .value_kind:     global_buffer
      - .address_space:  global
        .offset:         80
        .size:           8
        .value_kind:     global_buffer
    .group_segment_fixed_size: 0
    .kernarg_segment_align: 8
    .kernarg_segment_size: 88
    .language:       OpenCL C
    .language_version:
      - 2
      - 0
    .max_flat_workgroup_size: 208
    .name:           fft_rtc_back_len1664_factors_13_2_2_4_2_2_2_wgs_208_tpt_208_halfLds_sp_ip_CI_unitstride_sbrr_C2R_dirReg
    .private_segment_fixed_size: 0
    .sgpr_count:     34
    .sgpr_spill_count: 0
    .symbol:         fft_rtc_back_len1664_factors_13_2_2_4_2_2_2_wgs_208_tpt_208_halfLds_sp_ip_CI_unitstride_sbrr_C2R_dirReg.kd
    .uniform_work_group_size: 1
    .uses_dynamic_stack: false
    .vgpr_count:     112
    .vgpr_spill_count: 0
    .wavefront_size: 32
    .workgroup_processor_mode: 1
amdhsa.target:   amdgcn-amd-amdhsa--gfx1201
amdhsa.version:
  - 1
  - 2
...

	.end_amdgpu_metadata
